;; amdgpu-corpus repo=ROCm/rocFFT kind=compiled arch=gfx906 opt=O3
	.text
	.amdgcn_target "amdgcn-amd-amdhsa--gfx906"
	.amdhsa_code_object_version 6
	.protected	fft_rtc_fwd_len28_factors_7_4_wgs_64_tpt_4_halfLds_sp_op_CI_CI_unitstride_sbrr_R2C_dirReg ; -- Begin function fft_rtc_fwd_len28_factors_7_4_wgs_64_tpt_4_halfLds_sp_op_CI_CI_unitstride_sbrr_R2C_dirReg
	.globl	fft_rtc_fwd_len28_factors_7_4_wgs_64_tpt_4_halfLds_sp_op_CI_CI_unitstride_sbrr_R2C_dirReg
	.p2align	8
	.type	fft_rtc_fwd_len28_factors_7_4_wgs_64_tpt_4_halfLds_sp_op_CI_CI_unitstride_sbrr_R2C_dirReg,@function
fft_rtc_fwd_len28_factors_7_4_wgs_64_tpt_4_halfLds_sp_op_CI_CI_unitstride_sbrr_R2C_dirReg: ; @fft_rtc_fwd_len28_factors_7_4_wgs_64_tpt_4_halfLds_sp_op_CI_CI_unitstride_sbrr_R2C_dirReg
; %bb.0:
	s_load_dwordx4 s[8:11], s[4:5], 0x58
	s_load_dwordx4 s[12:15], s[4:5], 0x0
	;; [unrolled: 1-line block ×3, first 2 shown]
	v_lshrrev_b32_e32 v7, 2, v0
	v_mov_b32_e32 v3, 0
	v_mov_b32_e32 v1, 0
	s_waitcnt lgkmcnt(0)
	v_cmp_lt_u64_e64 s[0:1], s[14:15], 2
	v_lshl_or_b32 v5, s6, 4, v7
	v_mov_b32_e32 v6, v3
	s_and_b64 vcc, exec, s[0:1]
	v_mov_b32_e32 v2, 0
	s_cbranch_vccnz .LBB0_8
; %bb.1:
	s_load_dwordx2 s[0:1], s[4:5], 0x10
	s_add_u32 s2, s18, 8
	s_addc_u32 s3, s19, 0
	s_add_u32 s6, s16, 8
	v_mov_b32_e32 v1, 0
	s_addc_u32 s7, s17, 0
	v_mov_b32_e32 v2, 0
	s_waitcnt lgkmcnt(0)
	s_add_u32 s20, s0, 8
	v_mov_b32_e32 v9, v2
	s_addc_u32 s21, s1, 0
	s_mov_b64 s[22:23], 1
	v_mov_b32_e32 v8, v1
.LBB0_2:                                ; =>This Inner Loop Header: Depth=1
	s_load_dwordx2 s[24:25], s[20:21], 0x0
                                        ; implicit-def: $vgpr10_vgpr11
	s_waitcnt lgkmcnt(0)
	v_or_b32_e32 v4, s25, v6
	v_cmp_ne_u64_e32 vcc, 0, v[3:4]
	s_and_saveexec_b64 s[0:1], vcc
	s_xor_b64 s[26:27], exec, s[0:1]
	s_cbranch_execz .LBB0_4
; %bb.3:                                ;   in Loop: Header=BB0_2 Depth=1
	v_cvt_f32_u32_e32 v4, s24
	v_cvt_f32_u32_e32 v10, s25
	s_sub_u32 s0, 0, s24
	s_subb_u32 s1, 0, s25
	v_mac_f32_e32 v4, 0x4f800000, v10
	v_rcp_f32_e32 v4, v4
	v_mul_f32_e32 v4, 0x5f7ffffc, v4
	v_mul_f32_e32 v10, 0x2f800000, v4
	v_trunc_f32_e32 v10, v10
	v_mac_f32_e32 v4, 0xcf800000, v10
	v_cvt_u32_f32_e32 v10, v10
	v_cvt_u32_f32_e32 v4, v4
	v_mul_lo_u32 v11, s0, v10
	v_mul_hi_u32 v12, s0, v4
	v_mul_lo_u32 v14, s1, v4
	v_mul_lo_u32 v13, s0, v4
	v_add_u32_e32 v11, v12, v11
	v_add_u32_e32 v11, v11, v14
	v_mul_hi_u32 v12, v4, v13
	v_mul_lo_u32 v14, v4, v11
	v_mul_hi_u32 v16, v4, v11
	v_mul_hi_u32 v15, v10, v13
	v_mul_lo_u32 v13, v10, v13
	v_mul_hi_u32 v17, v10, v11
	v_add_co_u32_e32 v12, vcc, v12, v14
	v_addc_co_u32_e32 v14, vcc, 0, v16, vcc
	v_mul_lo_u32 v11, v10, v11
	v_add_co_u32_e32 v12, vcc, v12, v13
	v_addc_co_u32_e32 v12, vcc, v14, v15, vcc
	v_addc_co_u32_e32 v13, vcc, 0, v17, vcc
	v_add_co_u32_e32 v11, vcc, v12, v11
	v_addc_co_u32_e32 v12, vcc, 0, v13, vcc
	v_add_co_u32_e32 v4, vcc, v4, v11
	v_addc_co_u32_e32 v10, vcc, v10, v12, vcc
	v_mul_lo_u32 v11, s0, v10
	v_mul_hi_u32 v12, s0, v4
	v_mul_lo_u32 v13, s1, v4
	v_mul_lo_u32 v14, s0, v4
	v_add_u32_e32 v11, v12, v11
	v_add_u32_e32 v11, v11, v13
	v_mul_lo_u32 v15, v4, v11
	v_mul_hi_u32 v16, v4, v14
	v_mul_hi_u32 v17, v4, v11
	v_mul_hi_u32 v13, v10, v14
	v_mul_lo_u32 v14, v10, v14
	v_mul_hi_u32 v12, v10, v11
	v_add_co_u32_e32 v15, vcc, v16, v15
	v_addc_co_u32_e32 v16, vcc, 0, v17, vcc
	v_mul_lo_u32 v11, v10, v11
	v_add_co_u32_e32 v14, vcc, v15, v14
	v_addc_co_u32_e32 v13, vcc, v16, v13, vcc
	v_addc_co_u32_e32 v12, vcc, 0, v12, vcc
	v_add_co_u32_e32 v11, vcc, v13, v11
	v_addc_co_u32_e32 v12, vcc, 0, v12, vcc
	v_add_co_u32_e32 v4, vcc, v4, v11
	v_addc_co_u32_e32 v12, vcc, v10, v12, vcc
	v_mad_u64_u32 v[10:11], s[0:1], v5, v12, 0
	v_mul_hi_u32 v13, v5, v4
	v_add_co_u32_e32 v14, vcc, v13, v10
	v_addc_co_u32_e32 v15, vcc, 0, v11, vcc
	v_mad_u64_u32 v[10:11], s[0:1], v6, v4, 0
	v_mad_u64_u32 v[12:13], s[0:1], v6, v12, 0
	v_add_co_u32_e32 v4, vcc, v14, v10
	v_addc_co_u32_e32 v4, vcc, v15, v11, vcc
	v_addc_co_u32_e32 v10, vcc, 0, v13, vcc
	v_add_co_u32_e32 v4, vcc, v4, v12
	v_addc_co_u32_e32 v12, vcc, 0, v10, vcc
	v_mul_lo_u32 v13, s25, v4
	v_mul_lo_u32 v14, s24, v12
	v_mad_u64_u32 v[10:11], s[0:1], s24, v4, 0
	v_add3_u32 v11, v11, v14, v13
	v_sub_u32_e32 v13, v6, v11
	v_mov_b32_e32 v14, s25
	v_sub_co_u32_e32 v10, vcc, v5, v10
	v_subb_co_u32_e64 v13, s[0:1], v13, v14, vcc
	v_subrev_co_u32_e64 v14, s[0:1], s24, v10
	v_subbrev_co_u32_e64 v13, s[0:1], 0, v13, s[0:1]
	v_cmp_le_u32_e64 s[0:1], s25, v13
	v_cndmask_b32_e64 v15, 0, -1, s[0:1]
	v_cmp_le_u32_e64 s[0:1], s24, v14
	v_cndmask_b32_e64 v14, 0, -1, s[0:1]
	v_cmp_eq_u32_e64 s[0:1], s25, v13
	v_cndmask_b32_e64 v13, v15, v14, s[0:1]
	v_add_co_u32_e64 v14, s[0:1], 2, v4
	v_addc_co_u32_e64 v15, s[0:1], 0, v12, s[0:1]
	v_add_co_u32_e64 v16, s[0:1], 1, v4
	v_addc_co_u32_e64 v17, s[0:1], 0, v12, s[0:1]
	v_subb_co_u32_e32 v11, vcc, v6, v11, vcc
	v_cmp_ne_u32_e64 s[0:1], 0, v13
	v_cmp_le_u32_e32 vcc, s25, v11
	v_cndmask_b32_e64 v13, v17, v15, s[0:1]
	v_cndmask_b32_e64 v15, 0, -1, vcc
	v_cmp_le_u32_e32 vcc, s24, v10
	v_cndmask_b32_e64 v10, 0, -1, vcc
	v_cmp_eq_u32_e32 vcc, s25, v11
	v_cndmask_b32_e32 v10, v15, v10, vcc
	v_cmp_ne_u32_e32 vcc, 0, v10
	v_cndmask_b32_e64 v10, v16, v14, s[0:1]
	v_cndmask_b32_e32 v11, v12, v13, vcc
	v_cndmask_b32_e32 v10, v4, v10, vcc
.LBB0_4:                                ;   in Loop: Header=BB0_2 Depth=1
	s_andn2_saveexec_b64 s[0:1], s[26:27]
	s_cbranch_execz .LBB0_6
; %bb.5:                                ;   in Loop: Header=BB0_2 Depth=1
	v_cvt_f32_u32_e32 v4, s24
	s_sub_i32 s26, 0, s24
	v_rcp_iflag_f32_e32 v4, v4
	v_mul_f32_e32 v4, 0x4f7ffffe, v4
	v_cvt_u32_f32_e32 v4, v4
	v_mul_lo_u32 v10, s26, v4
	v_mul_hi_u32 v10, v4, v10
	v_add_u32_e32 v4, v4, v10
	v_mul_hi_u32 v4, v5, v4
	v_mul_lo_u32 v10, v4, s24
	v_add_u32_e32 v11, 1, v4
	v_sub_u32_e32 v10, v5, v10
	v_subrev_u32_e32 v12, s24, v10
	v_cmp_le_u32_e32 vcc, s24, v10
	v_cndmask_b32_e32 v10, v10, v12, vcc
	v_cndmask_b32_e32 v4, v4, v11, vcc
	v_add_u32_e32 v11, 1, v4
	v_cmp_le_u32_e32 vcc, s24, v10
	v_cndmask_b32_e32 v10, v4, v11, vcc
	v_mov_b32_e32 v11, v3
.LBB0_6:                                ;   in Loop: Header=BB0_2 Depth=1
	s_or_b64 exec, exec, s[0:1]
	v_mul_lo_u32 v4, v11, s24
	v_mul_lo_u32 v14, v10, s25
	v_mad_u64_u32 v[12:13], s[0:1], v10, s24, 0
	s_load_dwordx2 s[0:1], s[6:7], 0x0
	s_load_dwordx2 s[24:25], s[2:3], 0x0
	v_add3_u32 v4, v13, v14, v4
	v_sub_co_u32_e32 v5, vcc, v5, v12
	v_subb_co_u32_e32 v4, vcc, v6, v4, vcc
	s_waitcnt lgkmcnt(0)
	v_mul_lo_u32 v6, s0, v4
	v_mul_lo_u32 v12, s1, v5
	v_mad_u64_u32 v[1:2], s[0:1], s0, v5, v[1:2]
	v_mul_lo_u32 v4, s24, v4
	v_mul_lo_u32 v13, s25, v5
	v_mad_u64_u32 v[8:9], s[0:1], s24, v5, v[8:9]
	s_add_u32 s22, s22, 1
	s_addc_u32 s23, s23, 0
	s_add_u32 s2, s2, 8
	v_add3_u32 v9, v13, v9, v4
	s_addc_u32 s3, s3, 0
	v_mov_b32_e32 v4, s14
	s_add_u32 s6, s6, 8
	v_mov_b32_e32 v5, s15
	s_addc_u32 s7, s7, 0
	v_cmp_ge_u64_e32 vcc, s[22:23], v[4:5]
	s_add_u32 s20, s20, 8
	v_add3_u32 v2, v12, v2, v6
	s_addc_u32 s21, s21, 0
	s_cbranch_vccnz .LBB0_9
; %bb.7:                                ;   in Loop: Header=BB0_2 Depth=1
	v_mov_b32_e32 v5, v10
	v_mov_b32_e32 v6, v11
	s_branch .LBB0_2
.LBB0_8:
	v_mov_b32_e32 v9, v2
	v_mov_b32_e32 v11, v6
	;; [unrolled: 1-line block ×4, first 2 shown]
.LBB0_9:
	s_load_dwordx2 s[0:1], s[4:5], 0x28
	s_lshl_b64 s[6:7], s[14:15], 3
	s_add_u32 s2, s18, s6
	s_addc_u32 s3, s19, s7
	v_and_b32_e32 v12, 3, v0
	s_waitcnt lgkmcnt(0)
	v_cmp_gt_u64_e32 vcc, s[0:1], v[10:11]
	v_cmp_le_u64_e64 s[0:1], s[0:1], v[10:11]
                                        ; implicit-def: $vgpr14
	s_and_saveexec_b64 s[4:5], s[0:1]
	s_xor_b64 s[0:1], exec, s[4:5]
; %bb.10:
	v_and_b32_e32 v12, 3, v0
	v_or_b32_e32 v14, 4, v12
                                        ; implicit-def: $vgpr1_vgpr2
; %bb.11:
	s_or_saveexec_b64 s[4:5], s[0:1]
	v_mul_u32_u24_e32 v0, 29, v7
	v_lshlrev_b32_e32 v13, 3, v0
	s_xor_b64 exec, exec, s[4:5]
	s_cbranch_execz .LBB0_13
; %bb.12:
	s_add_u32 s0, s16, s6
	s_addc_u32 s1, s17, s7
	s_load_dwordx2 s[0:1], s[0:1], 0x0
	v_lshlrev_b64 v[0:1], 3, v[1:2]
	v_mov_b32_e32 v7, s9
	v_lshlrev_b32_e32 v23, 3, v12
	v_or_b32_e32 v14, 4, v12
	s_waitcnt lgkmcnt(0)
	v_mul_lo_u32 v5, s1, v10
	v_mul_lo_u32 v6, s0, v11
	v_mad_u64_u32 v[3:4], s[0:1], s0, v10, 0
	v_add3_u32 v4, v4, v6, v5
	v_lshlrev_b64 v[2:3], 3, v[3:4]
	v_add_co_u32_e64 v2, s[0:1], s8, v2
	v_addc_co_u32_e64 v3, s[0:1], v7, v3, s[0:1]
	v_add_co_u32_e64 v0, s[0:1], v2, v0
	v_addc_co_u32_e64 v1, s[0:1], v3, v1, s[0:1]
	;; [unrolled: 2-line block ×3, first 2 shown]
	global_load_dwordx2 v[2:3], v[0:1], off
	global_load_dwordx2 v[4:5], v[0:1], off offset:32
	global_load_dwordx2 v[6:7], v[0:1], off offset:64
	;; [unrolled: 1-line block ×6, first 2 shown]
	v_add3_u32 v0, 0, v13, v23
	s_waitcnt vmcnt(5)
	ds_write2_b64 v0, v[2:3], v[4:5] offset1:4
	s_waitcnt vmcnt(3)
	ds_write2_b64 v0, v[6:7], v[15:16] offset0:8 offset1:12
	s_waitcnt vmcnt(1)
	ds_write2_b64 v0, v[17:18], v[19:20] offset0:16 offset1:20
	s_waitcnt vmcnt(0)
	ds_write_b64 v0, v[21:22] offset:192
.LBB0_13:
	s_or_b64 exec, exec, s[4:5]
	v_lshlrev_b32_e32 v25, 3, v12
	v_add3_u32 v26, 0, v25, v13
	s_load_dwordx2 s[4:5], s[2:3], 0x0
	s_waitcnt lgkmcnt(0)
	; wave barrier
	s_waitcnt lgkmcnt(0)
	ds_read2_b64 v[0:3], v26 offset0:4 offset1:8
	ds_read2_b64 v[4:7], v26 offset0:20 offset1:24
	;; [unrolled: 1-line block ×3, first 2 shown]
	v_add_u32_e32 v23, 0, v13
	v_add_u32_e32 v24, v23, v25
	s_mov_b32 s0, 0x3f5ff5aa
	s_waitcnt lgkmcnt(1)
	v_add_f32_e32 v19, v0, v6
	v_add_f32_e32 v20, v1, v7
	v_sub_f32_e32 v6, v0, v6
	v_sub_f32_e32 v7, v1, v7
	ds_read_b64 v[0:1], v24
	v_add_f32_e32 v21, v2, v4
	v_add_f32_e32 v22, v3, v5
	v_sub_f32_e32 v2, v2, v4
	s_waitcnt lgkmcnt(1)
	v_add_f32_e32 v4, v15, v17
	v_sub_f32_e32 v15, v17, v15
	v_add_f32_e32 v17, v21, v19
	v_sub_f32_e32 v3, v3, v5
	;; [unrolled: 2-line block ×3, first 2 shown]
	v_add_f32_e32 v17, v4, v17
	v_add_f32_e32 v18, v22, v20
	;; [unrolled: 1-line block ×3, first 2 shown]
	s_waitcnt lgkmcnt(0)
	v_add_f32_e32 v0, v0, v17
	v_add_f32_e32 v1, v1, v18
	v_sub_f32_e32 v27, v21, v19
	v_sub_f32_e32 v19, v19, v4
	;; [unrolled: 1-line block ×6, first 2 shown]
	v_add_f32_e32 v22, v15, v2
	v_mov_b32_e32 v31, v0
	v_sub_f32_e32 v28, v15, v2
	v_sub_f32_e32 v15, v6, v15
	;; [unrolled: 1-line block ×3, first 2 shown]
	v_add_f32_e32 v6, v22, v6
	v_add_f32_e32 v2, v16, v3
	v_sub_f32_e32 v22, v16, v3
	v_fmac_f32_e32 v31, 0xbf955555, v17
	v_mov_b32_e32 v17, v1
	v_sub_f32_e32 v16, v7, v16
	v_sub_f32_e32 v30, v3, v7
	v_add_f32_e32 v7, v2, v7
	v_fmac_f32_e32 v17, 0xbf955555, v18
	v_mul_f32_e32 v2, 0x3f4a47b2, v19
	v_mul_f32_e32 v3, 0x3f4a47b2, v20
	;; [unrolled: 1-line block ×4, first 2 shown]
	s_mov_b32 s1, 0xbf3bfb3b
	v_fma_f32 v20, v27, s1, -v2
	v_fmac_f32_e32 v2, 0x3d64c772, v4
	v_fma_f32 v22, v21, s1, -v3
	v_fmac_f32_e32 v3, 0x3d64c772, v5
	v_fma_f32 v28, v29, s0, -v18
	v_fmac_f32_e32 v18, 0x3eae86e6, v15
	v_fma_f32 v32, v30, s0, -v19
	v_fmac_f32_e32 v19, 0x3eae86e6, v16
	v_add_f32_e32 v33, v2, v31
	v_add_f32_e32 v34, v3, v17
	v_fmac_f32_e32 v18, 0x3ee1c552, v6
	v_fmac_f32_e32 v19, 0x3ee1c552, v7
	v_add_f32_e32 v2, v33, v19
	v_sub_f32_e32 v3, v34, v18
	v_mad_u32_u24 v35, v12, 48, v26
	s_waitcnt lgkmcnt(0)
	; wave barrier
	ds_write2_b64 v35, v[0:1], v[2:3] offset1:1
	v_mul_f32_e32 v0, 0x3d64c772, v4
	s_mov_b32 s0, 0x3f3bfb3b
	v_mul_f32_e32 v1, 0x3d64c772, v5
	v_fma_f32 v0, v27, s0, -v0
	v_fma_f32 v1, v21, s0, -v1
	v_mul_f32_e32 v2, 0x3f5ff5aa, v29
	s_mov_b32 s0, 0xbeae86e6
	v_fma_f32 v4, v15, s0, -v2
	v_mul_f32_e32 v2, 0x3f5ff5aa, v30
	v_fma_f32 v5, v16, s0, -v2
	v_add_f32_e32 v15, v0, v31
	v_add_f32_e32 v20, v20, v31
	;; [unrolled: 1-line block ×4, first 2 shown]
	v_fmac_f32_e32 v28, 0x3ee1c552, v6
	v_fmac_f32_e32 v4, 0x3ee1c552, v6
	;; [unrolled: 1-line block ×4, first 2 shown]
	v_add_f32_e32 v0, v5, v20
	v_sub_f32_e32 v1, v17, v4
	v_sub_f32_e32 v2, v15, v32
	v_add_f32_e32 v3, v28, v16
	ds_write2_b64 v35, v[0:1], v[2:3] offset0:2 offset1:3
	v_add_f32_e32 v15, v32, v15
	v_sub_f32_e32 v16, v16, v28
	v_sub_f32_e32 v0, v20, v5
	v_add_f32_e32 v1, v4, v17
	v_sub_f32_e32 v2, v33, v19
	v_add_f32_e32 v3, v18, v34
	ds_write2_b64 v35, v[15:16], v[0:1] offset0:4 offset1:5
	ds_write_b64 v35, v[2:3] offset:48
	s_waitcnt lgkmcnt(0)
	; wave barrier
	s_waitcnt lgkmcnt(0)
	ds_read_b64 v[19:20], v24
	ds_read_b64 v[21:22], v26 offset:168
	ds_read2_b64 v[4:7], v26 offset0:7 offset1:14
	v_cmp_eq_u32_e64 s[0:1], 3, v12
	v_cmp_ne_u32_e64 s[2:3], 3, v12
	v_lshlrev_b32_e32 v27, 3, v14
                                        ; implicit-def: $vgpr18
	s_and_saveexec_b64 s[6:7], s[2:3]
	s_cbranch_execz .LBB0_15
; %bb.14:
	v_add3_u32 v15, 0, v27, v13
	ds_read2_b64 v[0:3], v26 offset0:11 offset1:18
	ds_read_b64 v[15:16], v15
	ds_read_b64 v[17:18], v26 offset:200
.LBB0_15:
	s_or_b64 exec, exec, s[6:7]
	v_mul_u32_u24_e32 v28, 3, v12
	v_lshlrev_b32_e32 v34, 3, v28
	global_load_dwordx4 v[28:31], v34, s[12:13]
	global_load_dwordx2 v[32:33], v34, s[12:13] offset:16
	s_waitcnt lgkmcnt(0)
	; wave barrier
	s_waitcnt vmcnt(1) lgkmcnt(0)
	v_mul_f32_e32 v34, v29, v5
	v_mul_f32_e32 v29, v29, v4
	v_mul_f32_e32 v35, v31, v7
	v_mul_f32_e32 v31, v31, v6
	s_waitcnt vmcnt(0)
	v_mul_f32_e32 v36, v33, v22
	v_mul_f32_e32 v33, v33, v21
	v_fma_f32 v4, v28, v4, -v34
	v_fmac_f32_e32 v29, v28, v5
	v_fma_f32 v5, v30, v6, -v35
	v_fmac_f32_e32 v31, v30, v7
	;; [unrolled: 2-line block ×3, first 2 shown]
	v_sub_f32_e32 v21, v19, v5
	v_sub_f32_e32 v22, v20, v31
	;; [unrolled: 1-line block ×4, first 2 shown]
	v_fma_f32 v28, v19, 2.0, -v21
	v_fma_f32 v30, v20, 2.0, -v22
	;; [unrolled: 1-line block ×4, first 2 shown]
	v_sub_f32_e32 v4, v21, v6
	v_add_f32_e32 v5, v22, v5
	v_sub_f32_e32 v6, v28, v7
	v_sub_f32_e32 v7, v30, v19
	v_fma_f32 v19, v21, 2.0, -v4
	v_fma_f32 v20, v22, 2.0, -v5
	;; [unrolled: 1-line block ×4, first 2 shown]
	ds_write2_b64 v26, v[21:22], v[19:20] offset1:7
	ds_write2_b64 v26, v[6:7], v[4:5] offset0:14 offset1:21
	s_and_saveexec_b64 s[6:7], s[2:3]
	s_cbranch_execz .LBB0_17
; %bb.16:
	v_mul_i32_i24_e32 v4, 3, v14
	v_cndmask_b32_e64 v4, v4, 0, s[0:1]
	v_mov_b32_e32 v5, 0
	v_lshlrev_b64 v[4:5], 3, v[4:5]
	v_mov_b32_e32 v6, s13
	v_add_co_u32_e64 v19, s[0:1], s12, v4
	v_addc_co_u32_e64 v20, s[0:1], v6, v5, s[0:1]
	global_load_dwordx4 v[4:7], v[19:20], off
	global_load_dwordx2 v[21:22], v[19:20], off offset:16
	v_add3_u32 v13, 0, v27, v13
	s_waitcnt vmcnt(1)
	v_mul_f32_e32 v19, v2, v7
	v_mul_f32_e32 v20, v1, v5
	s_waitcnt vmcnt(0)
	v_mul_f32_e32 v27, v18, v22
	v_mul_f32_e32 v7, v3, v7
	;; [unrolled: 1-line block ×4, first 2 shown]
	v_fmac_f32_e32 v19, v3, v6
	v_fma_f32 v3, v0, v4, -v20
	v_fma_f32 v0, v17, v21, -v27
	;; [unrolled: 1-line block ×3, first 2 shown]
	v_fmac_f32_e32 v5, v1, v4
	v_fmac_f32_e32 v22, v18, v21
	v_sub_f32_e32 v4, v16, v19
	v_sub_f32_e32 v6, v3, v0
	;; [unrolled: 1-line block ×4, first 2 shown]
	v_add_f32_e32 v1, v4, v6
	v_fma_f32 v16, v16, 2.0, -v4
	v_fma_f32 v5, v5, 2.0, -v7
	;; [unrolled: 1-line block ×5, first 2 shown]
	v_sub_f32_e32 v5, v16, v5
	v_sub_f32_e32 v4, v15, v6
	v_sub_f32_e32 v0, v2, v7
	v_fma_f32 v7, v16, 2.0, -v5
	v_fma_f32 v6, v15, 2.0, -v4
	;; [unrolled: 1-line block ×3, first 2 shown]
	ds_write_b64 v13, v[6:7]
	ds_write2_b64 v26, v[2:3], v[4:5] offset0:11 offset1:18
	ds_write_b64 v26, v[0:1] offset:200
.LBB0_17:
	s_or_b64 exec, exec, s[6:7]
	s_waitcnt lgkmcnt(0)
	; wave barrier
	s_waitcnt lgkmcnt(0)
	ds_read_b64 v[4:5], v24
	v_sub_u32_e32 v6, v23, v25
	v_cmp_ne_u32_e64 s[0:1], 0, v12
                                        ; implicit-def: $vgpr1
                                        ; implicit-def: $vgpr7
                                        ; implicit-def: $vgpr2_vgpr3
	s_and_saveexec_b64 s[2:3], s[0:1]
	s_xor_b64 s[2:3], exec, s[2:3]
	s_cbranch_execz .LBB0_19
; %bb.18:
	v_mov_b32_e32 v13, 0
	v_lshlrev_b64 v[0:1], 3, v[12:13]
	v_mov_b32_e32 v2, s13
	v_add_co_u32_e64 v0, s[0:1], s12, v0
	v_addc_co_u32_e64 v1, s[0:1], v2, v1, s[0:1]
	global_load_dwordx2 v[0:1], v[0:1], off offset:168
	ds_read_b64 v[2:3], v6 offset:224
	s_waitcnt lgkmcnt(0)
	v_add_f32_e32 v15, v2, v4
	v_sub_f32_e32 v2, v4, v2
	v_add_f32_e32 v7, v3, v5
	v_sub_f32_e32 v3, v5, v3
	v_mul_f32_e32 v2, 0.5, v2
	v_mul_f32_e32 v4, 0.5, v7
	;; [unrolled: 1-line block ×3, first 2 shown]
	s_waitcnt vmcnt(0)
	v_mul_f32_e32 v5, v1, v2
	v_fma_f32 v7, v4, v1, v3
	v_fma_f32 v1, v4, v1, -v3
	v_fma_f32 v3, 0.5, v15, v5
	v_fmac_f32_e32 v3, v0, v4
	v_fma_f32 v7, -v0, v2, v7
	v_fma_f32 v5, v15, 0.5, -v5
	v_fma_f32 v1, -v0, v2, v1
	ds_write_b32 v24, v3
	v_mov_b32_e32 v2, v12
	v_fma_f32 v0, -v0, v4, v5
	v_mov_b32_e32 v3, v13
                                        ; implicit-def: $vgpr4_vgpr5
.LBB0_19:
	s_andn2_saveexec_b64 s[0:1], s[2:3]
	s_cbranch_execz .LBB0_21
; %bb.20:
	ds_read_b32 v1, v23 offset:116
	s_waitcnt lgkmcnt(1)
	v_add_f32_e32 v7, v4, v5
	v_mov_b32_e32 v2, 0
	ds_write_b32 v24, v7
	v_mov_b32_e32 v7, 0
	s_waitcnt lgkmcnt(1)
	v_xor_b32_e32 v1, 0x80000000, v1
	v_sub_f32_e32 v0, v4, v5
	v_mov_b32_e32 v3, 0
	ds_write_b32 v23, v1 offset:116
	v_mov_b32_e32 v1, v7
.LBB0_21:
	s_or_b64 exec, exec, s[0:1]
	v_mov_b32_e32 v15, 0
	s_waitcnt lgkmcnt(0)
	v_lshlrev_b64 v[4:5], 3, v[14:15]
	v_mov_b32_e32 v13, s13
	v_add_co_u32_e64 v4, s[0:1], s12, v4
	v_addc_co_u32_e64 v5, s[0:1], v13, v5, s[0:1]
	global_load_dwordx2 v[4:5], v[4:5], off offset:168
	s_add_u32 s0, s12, 0xa8
	v_lshlrev_b64 v[2:3], 3, v[2:3]
	s_addc_u32 s1, s13, 0
	v_mov_b32_e32 v13, s1
	v_add_co_u32_e64 v2, s[0:1], s0, v2
	v_addc_co_u32_e64 v3, s[0:1], v13, v3, s[0:1]
	global_load_dwordx2 v[15:16], v[2:3], off offset:64
	ds_write_b32 v24, v7 offset:4
	ds_write_b64 v6, v[0:1] offset:224
	v_lshl_add_u32 v7, v14, 3, v23
	ds_read_b64 v[0:1], v7
	ds_read_b64 v[13:14], v6 offset:192
	s_waitcnt lgkmcnt(0)
	v_add_f32_e32 v17, v0, v13
	v_sub_f32_e32 v0, v0, v13
	v_add_f32_e32 v18, v1, v14
	v_sub_f32_e32 v1, v1, v14
	v_mul_f32_e32 v14, 0.5, v0
	v_mul_f32_e32 v13, 0.5, v18
	;; [unrolled: 1-line block ×3, first 2 shown]
	s_waitcnt vmcnt(1)
	v_mul_f32_e32 v18, v5, v14
	v_fma_f32 v1, v13, v5, v0
	v_fma_f32 v5, v13, v5, -v0
	v_fma_f32 v0, 0.5, v17, v18
	v_fma_f32 v1, -v4, v14, v1
	v_fma_f32 v17, v17, 0.5, -v18
	v_fmac_f32_e32 v0, v4, v13
	v_fma_f32 v5, -v4, v14, v5
	v_fma_f32 v4, -v4, v13, v17
	ds_write_b64 v7, v[0:1]
	ds_write_b64 v6, v[4:5] offset:192
	ds_read_b64 v[0:1], v24 offset:64
	ds_read_b64 v[4:5], v6 offset:160
	v_or_b32_e32 v7, 12, v12
	v_cmp_gt_u32_e64 s[0:1], 14, v7
	s_waitcnt lgkmcnt(0)
	v_add_f32_e32 v13, v0, v4
	v_sub_f32_e32 v0, v0, v4
	v_add_f32_e32 v14, v1, v5
	v_sub_f32_e32 v1, v1, v5
	v_mul_f32_e32 v5, 0.5, v0
	v_mul_f32_e32 v4, 0.5, v14
	;; [unrolled: 1-line block ×3, first 2 shown]
	s_waitcnt vmcnt(0)
	v_mul_f32_e32 v14, v16, v5
	v_fma_f32 v1, v4, v16, v0
	v_fma_f32 v16, v4, v16, -v0
	v_fma_f32 v0, 0.5, v13, v14
	v_fma_f32 v1, -v15, v5, v1
	v_fma_f32 v13, v13, 0.5, -v14
	v_fmac_f32_e32 v0, v15, v4
	v_fma_f32 v5, -v15, v5, v16
	v_fma_f32 v4, -v15, v4, v13
	ds_write_b64 v24, v[0:1] offset:64
	ds_write_b64 v6, v[4:5] offset:160
	s_and_saveexec_b64 s[2:3], s[0:1]
	s_cbranch_execz .LBB0_23
; %bb.22:
	global_load_dwordx2 v[0:1], v[2:3], off offset:96
	ds_read_b64 v[2:3], v24 offset:96
	ds_read_b64 v[4:5], v6 offset:128
	s_waitcnt lgkmcnt(0)
	v_add_f32_e32 v7, v2, v4
	v_sub_f32_e32 v2, v2, v4
	v_add_f32_e32 v13, v3, v5
	v_sub_f32_e32 v3, v3, v5
	v_mul_f32_e32 v4, 0.5, v2
	v_mul_f32_e32 v5, 0.5, v13
	;; [unrolled: 1-line block ×3, first 2 shown]
	s_waitcnt vmcnt(0)
	v_mul_f32_e32 v3, v1, v4
	v_fma_f32 v13, v5, v1, v2
	v_fma_f32 v14, v5, v1, -v2
	v_fma_f32 v1, 0.5, v7, v3
	v_fma_f32 v2, -v0, v4, v13
	v_fma_f32 v3, v7, 0.5, -v3
	v_fmac_f32_e32 v1, v0, v5
	v_fma_f32 v4, -v0, v4, v14
	v_fma_f32 v3, -v0, v5, v3
	ds_write_b64 v24, v[1:2] offset:96
	ds_write_b64 v6, v[3:4] offset:128
.LBB0_23:
	s_or_b64 exec, exec, s[2:3]
	s_waitcnt lgkmcnt(0)
	; wave barrier
	s_waitcnt lgkmcnt(0)
	s_and_saveexec_b64 s[0:1], vcc
	s_cbranch_execz .LBB0_26
; %bb.24:
	v_mul_lo_u32 v2, s5, v10
	v_mul_lo_u32 v3, s4, v11
	v_mad_u64_u32 v[0:1], s[0:1], s4, v10, 0
	v_mov_b32_e32 v13, 0
	v_add3_u32 v1, v1, v3, v2
	v_lshlrev_b64 v[0:1], 3, v[0:1]
	v_mov_b32_e32 v3, s11
	v_add_co_u32_e32 v4, vcc, s10, v0
	v_addc_co_u32_e32 v3, vcc, v3, v1, vcc
	v_lshlrev_b64 v[0:1], 3, v[8:9]
	v_lshl_add_u32 v2, v12, 3, v23
	v_add_co_u32_e32 v0, vcc, v4, v0
	v_addc_co_u32_e32 v1, vcc, v3, v1, vcc
	ds_read2_b64 v[3:6], v2 offset1:4
	v_lshlrev_b64 v[7:8], 3, v[12:13]
	v_add_co_u32_e32 v7, vcc, v0, v7
	v_addc_co_u32_e32 v8, vcc, v1, v8, vcc
	s_waitcnt lgkmcnt(0)
	global_store_dwordx2 v[7:8], v[3:4], off
	v_add_u32_e32 v3, 4, v12
	v_mov_b32_e32 v4, v13
	v_lshlrev_b64 v[3:4], 3, v[3:4]
	v_add_u32_e32 v7, 8, v12
	v_add_co_u32_e32 v3, vcc, v0, v3
	v_addc_co_u32_e32 v4, vcc, v1, v4, vcc
	global_store_dwordx2 v[3:4], v[5:6], off
	v_mov_b32_e32 v8, v13
	ds_read2_b64 v[3:6], v2 offset0:8 offset1:12
	v_lshlrev_b64 v[7:8], 3, v[7:8]
	v_add_co_u32_e32 v7, vcc, v0, v7
	v_addc_co_u32_e32 v8, vcc, v1, v8, vcc
	s_waitcnt lgkmcnt(0)
	global_store_dwordx2 v[7:8], v[3:4], off
	v_add_u32_e32 v3, 12, v12
	v_mov_b32_e32 v4, v13
	v_lshlrev_b64 v[3:4], 3, v[3:4]
	v_add_u32_e32 v7, 16, v12
	v_add_co_u32_e32 v3, vcc, v0, v3
	v_addc_co_u32_e32 v4, vcc, v1, v4, vcc
	global_store_dwordx2 v[3:4], v[5:6], off
	v_mov_b32_e32 v8, v13
	ds_read2_b64 v[3:6], v2 offset0:16 offset1:20
	v_lshlrev_b64 v[7:8], 3, v[7:8]
	v_add_co_u32_e32 v7, vcc, v0, v7
	v_addc_co_u32_e32 v8, vcc, v1, v8, vcc
	s_waitcnt lgkmcnt(0)
	global_store_dwordx2 v[7:8], v[3:4], off
	v_add_u32_e32 v3, 20, v12
	v_mov_b32_e32 v4, v13
	v_lshlrev_b64 v[3:4], 3, v[3:4]
	v_add_co_u32_e32 v3, vcc, v0, v3
	v_addc_co_u32_e32 v4, vcc, v1, v4, vcc
	global_store_dwordx2 v[3:4], v[5:6], off
	v_add_u32_e32 v3, 24, v12
	v_mov_b32_e32 v4, v13
	ds_read_b64 v[5:6], v2 offset:192
	v_lshlrev_b64 v[3:4], 3, v[3:4]
	v_add_co_u32_e32 v3, vcc, v0, v3
	v_addc_co_u32_e32 v4, vcc, v1, v4, vcc
	v_cmp_eq_u32_e32 vcc, 3, v12
	s_waitcnt lgkmcnt(0)
	global_store_dwordx2 v[3:4], v[5:6], off
	s_and_b64 exec, exec, vcc
	s_cbranch_execz .LBB0_26
; %bb.25:
	ds_read_b64 v[2:3], v2 offset:200
	s_waitcnt lgkmcnt(0)
	global_store_dwordx2 v[0:1], v[2:3], off offset:224
.LBB0_26:
	s_endpgm
	.section	.rodata,"a",@progbits
	.p2align	6, 0x0
	.amdhsa_kernel fft_rtc_fwd_len28_factors_7_4_wgs_64_tpt_4_halfLds_sp_op_CI_CI_unitstride_sbrr_R2C_dirReg
		.amdhsa_group_segment_fixed_size 0
		.amdhsa_private_segment_fixed_size 0
		.amdhsa_kernarg_size 104
		.amdhsa_user_sgpr_count 6
		.amdhsa_user_sgpr_private_segment_buffer 1
		.amdhsa_user_sgpr_dispatch_ptr 0
		.amdhsa_user_sgpr_queue_ptr 0
		.amdhsa_user_sgpr_kernarg_segment_ptr 1
		.amdhsa_user_sgpr_dispatch_id 0
		.amdhsa_user_sgpr_flat_scratch_init 0
		.amdhsa_user_sgpr_private_segment_size 0
		.amdhsa_uses_dynamic_stack 0
		.amdhsa_system_sgpr_private_segment_wavefront_offset 0
		.amdhsa_system_sgpr_workgroup_id_x 1
		.amdhsa_system_sgpr_workgroup_id_y 0
		.amdhsa_system_sgpr_workgroup_id_z 0
		.amdhsa_system_sgpr_workgroup_info 0
		.amdhsa_system_vgpr_workitem_id 0
		.amdhsa_next_free_vgpr 37
		.amdhsa_next_free_sgpr 28
		.amdhsa_reserve_vcc 1
		.amdhsa_reserve_flat_scratch 0
		.amdhsa_float_round_mode_32 0
		.amdhsa_float_round_mode_16_64 0
		.amdhsa_float_denorm_mode_32 3
		.amdhsa_float_denorm_mode_16_64 3
		.amdhsa_dx10_clamp 1
		.amdhsa_ieee_mode 1
		.amdhsa_fp16_overflow 0
		.amdhsa_exception_fp_ieee_invalid_op 0
		.amdhsa_exception_fp_denorm_src 0
		.amdhsa_exception_fp_ieee_div_zero 0
		.amdhsa_exception_fp_ieee_overflow 0
		.amdhsa_exception_fp_ieee_underflow 0
		.amdhsa_exception_fp_ieee_inexact 0
		.amdhsa_exception_int_div_zero 0
	.end_amdhsa_kernel
	.text
.Lfunc_end0:
	.size	fft_rtc_fwd_len28_factors_7_4_wgs_64_tpt_4_halfLds_sp_op_CI_CI_unitstride_sbrr_R2C_dirReg, .Lfunc_end0-fft_rtc_fwd_len28_factors_7_4_wgs_64_tpt_4_halfLds_sp_op_CI_CI_unitstride_sbrr_R2C_dirReg
                                        ; -- End function
	.section	.AMDGPU.csdata,"",@progbits
; Kernel info:
; codeLenInByte = 3788
; NumSgprs: 32
; NumVgprs: 37
; ScratchSize: 0
; MemoryBound: 0
; FloatMode: 240
; IeeeMode: 1
; LDSByteSize: 0 bytes/workgroup (compile time only)
; SGPRBlocks: 3
; VGPRBlocks: 9
; NumSGPRsForWavesPerEU: 32
; NumVGPRsForWavesPerEU: 37
; Occupancy: 6
; WaveLimiterHint : 1
; COMPUTE_PGM_RSRC2:SCRATCH_EN: 0
; COMPUTE_PGM_RSRC2:USER_SGPR: 6
; COMPUTE_PGM_RSRC2:TRAP_HANDLER: 0
; COMPUTE_PGM_RSRC2:TGID_X_EN: 1
; COMPUTE_PGM_RSRC2:TGID_Y_EN: 0
; COMPUTE_PGM_RSRC2:TGID_Z_EN: 0
; COMPUTE_PGM_RSRC2:TIDIG_COMP_CNT: 0
	.type	__hip_cuid_a5e15c6de217192a,@object ; @__hip_cuid_a5e15c6de217192a
	.section	.bss,"aw",@nobits
	.globl	__hip_cuid_a5e15c6de217192a
__hip_cuid_a5e15c6de217192a:
	.byte	0                               ; 0x0
	.size	__hip_cuid_a5e15c6de217192a, 1

	.ident	"AMD clang version 19.0.0git (https://github.com/RadeonOpenCompute/llvm-project roc-6.4.0 25133 c7fe45cf4b819c5991fe208aaa96edf142730f1d)"
	.section	".note.GNU-stack","",@progbits
	.addrsig
	.addrsig_sym __hip_cuid_a5e15c6de217192a
	.amdgpu_metadata
---
amdhsa.kernels:
  - .args:
      - .actual_access:  read_only
        .address_space:  global
        .offset:         0
        .size:           8
        .value_kind:     global_buffer
      - .offset:         8
        .size:           8
        .value_kind:     by_value
      - .actual_access:  read_only
        .address_space:  global
        .offset:         16
        .size:           8
        .value_kind:     global_buffer
      - .actual_access:  read_only
        .address_space:  global
        .offset:         24
        .size:           8
        .value_kind:     global_buffer
      - .actual_access:  read_only
        .address_space:  global
        .offset:         32
        .size:           8
        .value_kind:     global_buffer
      - .offset:         40
        .size:           8
        .value_kind:     by_value
      - .actual_access:  read_only
        .address_space:  global
        .offset:         48
        .size:           8
        .value_kind:     global_buffer
      - .actual_access:  read_only
        .address_space:  global
        .offset:         56
        .size:           8
        .value_kind:     global_buffer
      - .offset:         64
        .size:           4
        .value_kind:     by_value
      - .actual_access:  read_only
        .address_space:  global
        .offset:         72
        .size:           8
        .value_kind:     global_buffer
      - .actual_access:  read_only
        .address_space:  global
        .offset:         80
        .size:           8
        .value_kind:     global_buffer
      - .actual_access:  read_only
        .address_space:  global
        .offset:         88
        .size:           8
        .value_kind:     global_buffer
      - .actual_access:  write_only
        .address_space:  global
        .offset:         96
        .size:           8
        .value_kind:     global_buffer
    .group_segment_fixed_size: 0
    .kernarg_segment_align: 8
    .kernarg_segment_size: 104
    .language:       OpenCL C
    .language_version:
      - 2
      - 0
    .max_flat_workgroup_size: 64
    .name:           fft_rtc_fwd_len28_factors_7_4_wgs_64_tpt_4_halfLds_sp_op_CI_CI_unitstride_sbrr_R2C_dirReg
    .private_segment_fixed_size: 0
    .sgpr_count:     32
    .sgpr_spill_count: 0
    .symbol:         fft_rtc_fwd_len28_factors_7_4_wgs_64_tpt_4_halfLds_sp_op_CI_CI_unitstride_sbrr_R2C_dirReg.kd
    .uniform_work_group_size: 1
    .uses_dynamic_stack: false
    .vgpr_count:     37
    .vgpr_spill_count: 0
    .wavefront_size: 64
amdhsa.target:   amdgcn-amd-amdhsa--gfx906
amdhsa.version:
  - 1
  - 2
...

	.end_amdgpu_metadata
